;; amdgpu-corpus repo=ROCm/rocFFT kind=compiled arch=gfx950 opt=O3
	.text
	.amdgcn_target "amdgcn-amd-amdhsa--gfx950"
	.amdhsa_code_object_version 6
	.protected	fft_rtc_fwd_len91_factors_7_13_wgs_247_tpt_13_sp_ip_CI_sbrr_dirReg ; -- Begin function fft_rtc_fwd_len91_factors_7_13_wgs_247_tpt_13_sp_ip_CI_sbrr_dirReg
	.globl	fft_rtc_fwd_len91_factors_7_13_wgs_247_tpt_13_sp_ip_CI_sbrr_dirReg
	.p2align	8
	.type	fft_rtc_fwd_len91_factors_7_13_wgs_247_tpt_13_sp_ip_CI_sbrr_dirReg,@function
fft_rtc_fwd_len91_factors_7_13_wgs_247_tpt_13_sp_ip_CI_sbrr_dirReg: ; @fft_rtc_fwd_len91_factors_7_13_wgs_247_tpt_13_sp_ip_CI_sbrr_dirReg
; %bb.0:
	s_load_dwordx2 s[12:13], s[0:1], 0x18
	s_load_dwordx4 s[4:7], s[0:1], 0x0
	s_load_dwordx2 s[10:11], s[0:1], 0x50
	v_mul_u32_u24_e32 v1, 0x13b2, v0
	v_lshrrev_b32_e32 v2, 16, v1
	s_waitcnt lgkmcnt(0)
	s_load_dwordx2 s[8:9], s[12:13], 0x0
	v_mad_u64_u32 v[2:3], s[2:3], s2, 19, v[2:3]
	v_mov_b32_e32 v6, 0
	v_mov_b32_e32 v3, v6
	v_cmp_lt_u64_e64 s[2:3], s[6:7], 2
	s_and_b64 vcc, exec, s[2:3]
	v_mov_b64_e32 v[4:5], 0
	v_mov_b64_e32 v[10:11], v[2:3]
	s_cbranch_vccnz .LBB0_8
; %bb.1:
	s_load_dwordx2 s[2:3], s[0:1], 0x10
	s_add_u32 s14, s12, 8
	s_addc_u32 s15, s13, 0
	s_mov_b64 s[16:17], 1
	v_mov_b64_e32 v[4:5], 0
	s_waitcnt lgkmcnt(0)
	s_add_u32 s18, s2, 8
	s_addc_u32 s19, s3, 0
	v_mov_b64_e32 v[8:9], v[2:3]
.LBB0_2:                                ; =>This Inner Loop Header: Depth=1
	s_load_dwordx2 s[20:21], s[18:19], 0x0
                                        ; implicit-def: $vgpr10_vgpr11
	s_waitcnt lgkmcnt(0)
	v_or_b32_e32 v7, s21, v9
	v_cmp_ne_u64_e32 vcc, 0, v[6:7]
	s_and_saveexec_b64 s[2:3], vcc
	s_xor_b64 s[22:23], exec, s[2:3]
	s_cbranch_execz .LBB0_4
; %bb.3:                                ;   in Loop: Header=BB0_2 Depth=1
	v_cvt_f32_u32_e32 v1, s20
	v_cvt_f32_u32_e32 v3, s21
	s_sub_u32 s2, 0, s20
	s_subb_u32 s3, 0, s21
	v_fmac_f32_e32 v1, 0x4f800000, v3
	v_rcp_f32_e32 v1, v1
	s_nop 0
	v_mul_f32_e32 v1, 0x5f7ffffc, v1
	v_mul_f32_e32 v3, 0x2f800000, v1
	v_trunc_f32_e32 v3, v3
	v_fmac_f32_e32 v1, 0xcf800000, v3
	v_cvt_u32_f32_e32 v3, v3
	v_cvt_u32_f32_e32 v1, v1
	v_mul_lo_u32 v7, s2, v3
	v_mul_hi_u32 v10, s2, v1
	v_mul_lo_u32 v11, s3, v1
	v_add_u32_e32 v7, v10, v7
	v_mul_lo_u32 v14, s2, v1
	v_add_u32_e32 v7, v7, v11
	v_mul_hi_u32 v10, v1, v14
	v_mul_hi_u32 v13, v1, v7
	v_mul_lo_u32 v12, v1, v7
	v_mov_b32_e32 v11, v6
	v_lshl_add_u64 v[10:11], v[10:11], 0, v[12:13]
	v_mul_hi_u32 v13, v3, v14
	v_mul_lo_u32 v14, v3, v14
	v_add_co_u32_e32 v10, vcc, v10, v14
	v_mul_hi_u32 v12, v3, v7
	s_nop 0
	v_addc_co_u32_e32 v10, vcc, v11, v13, vcc
	v_mov_b32_e32 v11, v6
	s_nop 0
	v_addc_co_u32_e32 v13, vcc, 0, v12, vcc
	v_mul_lo_u32 v12, v3, v7
	v_lshl_add_u64 v[10:11], v[10:11], 0, v[12:13]
	v_add_co_u32_e32 v1, vcc, v1, v10
	v_mul_hi_u32 v10, s2, v1
	s_nop 0
	v_addc_co_u32_e32 v3, vcc, v3, v11, vcc
	v_mul_lo_u32 v7, s2, v3
	v_add_u32_e32 v7, v10, v7
	v_mul_lo_u32 v10, s3, v1
	v_add_u32_e32 v7, v7, v10
	v_mul_lo_u32 v12, s2, v1
	v_mul_hi_u32 v15, v3, v12
	v_mul_lo_u32 v16, v3, v12
	v_mul_hi_u32 v11, v1, v7
	;; [unrolled: 2-line block ×3, first 2 shown]
	v_mov_b32_e32 v13, v6
	v_lshl_add_u64 v[10:11], v[12:13], 0, v[10:11]
	v_add_co_u32_e32 v10, vcc, v10, v16
	v_mul_hi_u32 v14, v3, v7
	s_nop 0
	v_addc_co_u32_e32 v10, vcc, v11, v15, vcc
	v_mul_lo_u32 v12, v3, v7
	s_nop 0
	v_addc_co_u32_e32 v13, vcc, 0, v14, vcc
	v_mov_b32_e32 v11, v6
	v_lshl_add_u64 v[10:11], v[10:11], 0, v[12:13]
	v_add_co_u32_e32 v1, vcc, v1, v10
	v_mul_hi_u32 v12, v8, v1
	s_nop 0
	v_addc_co_u32_e32 v3, vcc, v3, v11, vcc
	v_mad_u64_u32 v[10:11], s[2:3], v8, v3, 0
	v_mov_b32_e32 v13, v6
	v_lshl_add_u64 v[10:11], v[12:13], 0, v[10:11]
	v_mad_u64_u32 v[14:15], s[2:3], v9, v1, 0
	v_add_co_u32_e32 v1, vcc, v10, v14
	v_mad_u64_u32 v[12:13], s[2:3], v9, v3, 0
	s_nop 0
	v_addc_co_u32_e32 v10, vcc, v11, v15, vcc
	v_mov_b32_e32 v11, v6
	s_nop 0
	v_addc_co_u32_e32 v13, vcc, 0, v13, vcc
	v_lshl_add_u64 v[10:11], v[10:11], 0, v[12:13]
	v_mul_lo_u32 v1, s21, v10
	v_mul_lo_u32 v3, s20, v11
	v_mad_u64_u32 v[12:13], s[2:3], s20, v10, 0
	v_add3_u32 v1, v13, v3, v1
	v_sub_u32_e32 v3, v9, v1
	v_mov_b32_e32 v7, s21
	v_sub_co_u32_e32 v16, vcc, v8, v12
	v_lshl_add_u64 v[14:15], v[10:11], 0, 1
	s_nop 0
	v_subb_co_u32_e64 v3, s[2:3], v3, v7, vcc
	v_subrev_co_u32_e64 v7, s[2:3], s20, v16
	v_subb_co_u32_e32 v1, vcc, v9, v1, vcc
	s_nop 0
	v_subbrev_co_u32_e64 v3, s[2:3], 0, v3, s[2:3]
	v_cmp_le_u32_e64 s[2:3], s21, v3
	v_cmp_le_u32_e32 vcc, s21, v1
	s_nop 0
	v_cndmask_b32_e64 v12, 0, -1, s[2:3]
	v_cmp_le_u32_e64 s[2:3], s20, v7
	s_nop 1
	v_cndmask_b32_e64 v7, 0, -1, s[2:3]
	v_cmp_eq_u32_e64 s[2:3], s21, v3
	s_nop 1
	v_cndmask_b32_e64 v3, v12, v7, s[2:3]
	v_lshl_add_u64 v[12:13], v[10:11], 0, 2
	v_cmp_ne_u32_e64 s[2:3], 0, v3
	v_cndmask_b32_e64 v7, 0, -1, vcc
	v_cmp_le_u32_e32 vcc, s20, v16
	v_cndmask_b32_e64 v3, v15, v13, s[2:3]
	s_nop 0
	v_cndmask_b32_e64 v13, 0, -1, vcc
	v_cmp_eq_u32_e32 vcc, s21, v1
	s_nop 1
	v_cndmask_b32_e32 v1, v7, v13, vcc
	v_cmp_ne_u32_e32 vcc, 0, v1
	v_cndmask_b32_e64 v1, v14, v12, s[2:3]
	s_nop 0
	v_cndmask_b32_e32 v11, v11, v3, vcc
	v_cndmask_b32_e32 v10, v10, v1, vcc
.LBB0_4:                                ;   in Loop: Header=BB0_2 Depth=1
	s_andn2_saveexec_b64 s[2:3], s[22:23]
	s_cbranch_execz .LBB0_6
; %bb.5:                                ;   in Loop: Header=BB0_2 Depth=1
	v_cvt_f32_u32_e32 v1, s20
	s_sub_i32 s22, 0, s20
	v_mov_b32_e32 v11, v6
	v_rcp_iflag_f32_e32 v1, v1
	s_nop 0
	v_mul_f32_e32 v1, 0x4f7ffffe, v1
	v_cvt_u32_f32_e32 v1, v1
	v_mul_lo_u32 v3, s22, v1
	v_mul_hi_u32 v3, v1, v3
	v_add_u32_e32 v1, v1, v3
	v_mul_hi_u32 v1, v8, v1
	v_mul_lo_u32 v3, v1, s20
	v_sub_u32_e32 v3, v8, v3
	v_add_u32_e32 v7, 1, v1
	v_subrev_u32_e32 v10, s20, v3
	v_cmp_le_u32_e32 vcc, s20, v3
	s_nop 1
	v_cndmask_b32_e32 v3, v3, v10, vcc
	v_cndmask_b32_e32 v1, v1, v7, vcc
	v_add_u32_e32 v7, 1, v1
	v_cmp_le_u32_e32 vcc, s20, v3
	s_nop 1
	v_cndmask_b32_e32 v10, v1, v7, vcc
.LBB0_6:                                ;   in Loop: Header=BB0_2 Depth=1
	s_or_b64 exec, exec, s[2:3]
	v_mad_u64_u32 v[12:13], s[2:3], v10, s20, 0
	s_load_dwordx2 s[2:3], s[14:15], 0x0
	s_add_u32 s16, s16, 1
	v_mul_lo_u32 v1, v11, s20
	v_mul_lo_u32 v3, v10, s21
	s_addc_u32 s17, s17, 0
	v_add3_u32 v1, v13, v3, v1
	v_sub_co_u32_e32 v3, vcc, v8, v12
	s_add_u32 s14, s14, 8
	s_nop 0
	v_subb_co_u32_e32 v1, vcc, v9, v1, vcc
	s_addc_u32 s15, s15, 0
	v_mov_b64_e32 v[8:9], s[6:7]
	s_waitcnt lgkmcnt(0)
	v_mul_lo_u32 v1, s2, v1
	v_mul_lo_u32 v7, s3, v3
	v_mad_u64_u32 v[4:5], s[2:3], s2, v3, v[4:5]
	s_add_u32 s18, s18, 8
	v_cmp_ge_u64_e32 vcc, s[16:17], v[8:9]
	v_add3_u32 v5, v7, v5, v1
	s_addc_u32 s19, s19, 0
	s_cbranch_vccnz .LBB0_8
; %bb.7:                                ;   in Loop: Header=BB0_2 Depth=1
	v_mov_b64_e32 v[8:9], v[10:11]
	s_branch .LBB0_2
.LBB0_8:
	s_lshl_b64 s[2:3], s[6:7], 3
	s_add_u32 s2, s12, s2
	s_addc_u32 s3, s13, s3
	s_load_dwordx2 s[6:7], s[2:3], 0x0
	s_load_dwordx2 s[12:13], s[0:1], 0x20
                                        ; implicit-def: $vgpr8
                                        ; implicit-def: $vgpr12
                                        ; implicit-def: $vgpr14
	s_waitcnt lgkmcnt(0)
	v_mad_u64_u32 v[6:7], s[0:1], s6, v10, v[4:5]
	v_mul_lo_u32 v1, s6, v11
	v_mul_lo_u32 v3, s7, v10
	s_mov_b32 s0, 0x13b13b14
	v_add3_u32 v7, v3, v7, v1
	v_mul_hi_u32 v1, v0, s0
	v_cmp_gt_u64_e32 vcc, s[12:13], v[10:11]
	v_mul_u32_u24_e32 v1, 13, v1
	v_mov_b64_e32 v[4:5], 0
	v_mov_b32_e32 v10, 0
	v_sub_u32_e32 v56, v0, v1
	v_lshl_add_u64 v[38:39], v[6:7], 3, s[10:11]
	v_mov_b64_e32 v[6:7], v[4:5]
	v_mov_b64_e32 v[0:1], v[4:5]
	v_mov_b32_e32 v11, v10
	s_and_saveexec_b64 s[0:1], vcc
	s_cbranch_execz .LBB0_10
; %bb.9:
	v_mad_u64_u32 v[0:1], s[2:3], s8, v56, 0
	v_mov_b32_e32 v4, v1
	v_mad_u64_u32 v[4:5], s[2:3], s9, v56, v[4:5]
	v_mov_b32_e32 v1, v4
	v_add_u32_e32 v3, 13, v56
	v_lshl_add_u64 v[10:11], v[0:1], 3, v[38:39]
	v_mad_u64_u32 v[0:1], s[2:3], s8, v3, 0
	v_mov_b32_e32 v4, v1
	v_mad_u64_u32 v[4:5], s[2:3], s9, v3, v[4:5]
	v_mov_b32_e32 v1, v4
	v_add_u32_e32 v3, 26, v56
	v_lshl_add_u64 v[12:13], v[0:1], 3, v[38:39]
	;; [unrolled: 6-line block ×4, first 2 shown]
	global_load_dwordx2 v[0:1], v[10:11], off
	global_load_dwordx2 v[4:5], v[12:13], off
	;; [unrolled: 1-line block ×4, first 2 shown]
	v_mad_u64_u32 v[10:11], s[2:3], s8, v3, 0
	v_mov_b32_e32 v12, v11
	v_mad_u64_u32 v[12:13], s[2:3], s9, v3, v[12:13]
	v_mov_b32_e32 v11, v12
	v_add_u32_e32 v3, 0x41, v56
	v_lshl_add_u64 v[16:17], v[10:11], 3, v[38:39]
	v_mad_u64_u32 v[10:11], s[2:3], s8, v3, 0
	v_mov_b32_e32 v12, v11
	v_mad_u64_u32 v[12:13], s[2:3], s9, v3, v[12:13]
	v_mov_b32_e32 v11, v12
	v_add_u32_e32 v3, 0x4e, v56
	v_lshl_add_u64 v[18:19], v[10:11], 3, v[38:39]
	v_mad_u64_u32 v[10:11], s[2:3], s8, v3, 0
	v_mov_b32_e32 v12, v11
	v_mad_u64_u32 v[12:13], s[2:3], s9, v3, v[12:13]
	v_mov_b32_e32 v11, v12
	v_lshl_add_u64 v[20:21], v[10:11], 3, v[38:39]
	global_load_dwordx2 v[10:11], v[16:17], off
	global_load_dwordx2 v[12:13], v[18:19], off
	;; [unrolled: 1-line block ×3, first 2 shown]
.LBB0_10:
	s_or_b64 exec, exec, s[0:1]
	s_mov_b32 s0, 0xaf286bcb
	v_mul_hi_u32 v3, v2, s0
	v_sub_u32_e32 v16, v2, v3
	v_lshrrev_b32_e32 v16, 1, v16
	s_waitcnt vmcnt(1)
	v_sub_f32_e32 v21, v6, v12
	v_sub_f32_e32 v23, v7, v13
	v_pk_add_f32 v[6:7], v[12:13], v[6:7]
	v_pk_add_f32 v[12:13], v[8:9], v[10:11]
	v_pk_add_f32 v[8:9], v[10:11], v[8:9] neg_lo:[0,1] neg_hi:[0,1]
	v_add_u32_e32 v3, v16, v3
	s_waitcnt vmcnt(0)
	v_sub_f32_e32 v17, v4, v14
	v_sub_f32_e32 v19, v5, v15
	v_pk_add_f32 v[4:5], v[14:15], v[4:5]
	v_add_f32_e32 v16, v23, v9
	v_lshrrev_b32_e32 v3, 4, v3
	v_pk_add_f32 v[10:11], v[4:5], v[6:7]
	v_add_f32_e32 v16, v19, v16
	v_mul_lo_u32 v3, v3, 19
	v_pk_add_f32 v[14:15], v[6:7], v[4:5] neg_lo:[0,1] neg_hi:[0,1]
	v_pk_add_f32 v[10:11], v[10:11], v[12:13]
	v_mul_f32_e32 v25, 0x3ee1c552, v16
	v_mov_b32_e32 v26, v12
	s_mov_b32 s2, 0x3f4a47b2
	v_mov_b32_e32 v12, v13
	v_mov_b32_e32 v13, v8
	;; [unrolled: 1-line block ×3, first 2 shown]
	v_sub_u32_e32 v2, v2, v3
	v_add_f32_e32 v14, v21, v8
	v_pk_add_f32 v[36:37], v[10:11], v[0:1]
	v_mov_b32_e32 v18, v4
	s_mov_b32 s3, 0x3eae86e6
	v_pk_add_f32 v[4:5], v[16:17], v[12:13] neg_lo:[0,1] neg_hi:[0,1]
	v_mul_u32_u24_e32 v3, 0x5b, v2
	v_sub_f32_e32 v2, v21, v17
	v_add_f32_e32 v14, v17, v14
	v_fmamk_f32 v24, v10, 0xbf955555, v36
	v_mov_b32_e32 v10, v15
	s_mov_b32 s1, 0x3f955555
	s_mov_b32 s0, 0x3f3bfb3b
	v_mov_b32_e32 v20, v7
	v_pk_mul_f32 v[4:5], v[4:5], s[2:3]
	v_mul_f32_e32 v1, 0x3ee1c552, v14
	v_mul_f32_e32 v0, 0x3f5ff5aa, v2
	v_pk_mul_f32 v[14:15], v[10:11], s[0:1]
	v_mov_b32_e32 v22, v6
	s_mov_b32 s6, 0x3d64c772
	v_pk_add_f32 v[6:7], v[12:13], v[20:21] neg_lo:[0,1] neg_hi:[0,1]
	v_xor_b32_e32 v12, 0x80000000, v4
	v_mov_b32_e32 v13, v37
	s_mov_b32 s7, 0xbf08b237
	v_mov_b32_e32 v15, v0
	v_pk_fma_f32 v[10:11], v[10:11], s[0:1], v[12:13] neg_lo:[1,0,0] neg_hi:[1,0,0]
	s_mov_b32 s10, 0x3f5ff5aa
	v_mov_b32_e32 v27, v9
	v_pk_fma_f32 v[8:9], v[6:7], s[6:7], v[14:15] neg_lo:[1,0,0] neg_hi:[1,0,0]
	s_mov_b32 s1, 0xbf5ff5aa
	v_mov_b32_e32 v0, v11
	v_pk_add_f32 v[28:29], v[26:27], v[22:23] neg_lo:[0,1] neg_hi:[0,1]
	v_pk_add_f32 v[26:27], v[18:19], v[26:27] neg_lo:[0,1] neg_hi:[0,1]
	v_fma_f32 v2, v2, s1, -v5
	v_pk_fma_f32 v[4:5], v[6:7], s[6:7], v[4:5]
	v_pk_add_f32 v[6:7], v[8:9], v[0:1]
	v_pk_add_f32 v[8:9], v[22:23], v[18:19] neg_lo:[0,1] neg_hi:[0,1]
	s_mov_b32 s1, s10
	v_pk_mul_f32 v[26:27], v[26:27], s[2:3]
	v_pk_mul_f32 v[8:9], v[8:9], s[0:1]
	v_mov_b32_e32 v11, v2
	v_pk_fma_f32 v[30:31], v[28:29], s[6:7], v[26:27]
	v_pk_add_f32 v[4:5], v[4:5], v[0:1]
	v_pk_fma_f32 v[12:13], v[28:29], s[6:7], v[8:9] neg_lo:[1,0,0] neg_hi:[1,0,0]
	v_pk_add_f32 v[14:15], v[10:11], v[0:1]
	v_mov_b32_e32 v0, v26
	v_mov_b32_e32 v1, v9
	;; [unrolled: 1-line block ×3, first 2 shown]
	v_pk_add_f32 v[30:31], v[30:31], v[24:25]
	v_pk_add_f32 v[0:1], v[0:1], v[8:9] neg_lo:[1,1] neg_hi:[1,1]
	v_mov_b32_e32 v8, v30
	v_pk_add_f32 v[20:21], v[0:1], v[24:25]
	v_mov_b32_e32 v9, v4
	v_mov_b32_e32 v10, v31
	;; [unrolled: 1-line block ×3, first 2 shown]
	v_pk_add_f32 v[12:13], v[12:13], v[24:25]
	v_pk_add_f32 v[40:41], v[8:9], v[10:11]
	v_pk_add_f32 v[8:9], v[8:9], v[10:11] neg_lo:[0,1] neg_hi:[0,1]
	v_mov_b32_e32 v10, v20
	v_mov_b32_e32 v11, v14
	;; [unrolled: 1-line block ×4, first 2 shown]
	v_pk_add_f32 v[42:43], v[10:11], v[16:17]
	v_pk_add_f32 v[10:11], v[10:11], v[16:17] neg_lo:[0,1] neg_hi:[0,1]
	v_mov_b32_e32 v16, v12
	v_mov_b32_e32 v17, v7
	;; [unrolled: 1-line block ×4, first 2 shown]
	v_pk_add_f32 v[44:45], v[16:17], v[18:19] neg_lo:[0,1] neg_hi:[0,1]
	v_pk_add_f32 v[16:17], v[16:17], v[18:19]
	v_mov_b32_e32 v18, v12
	v_mov_b32_e32 v6, v13
	v_pk_add_f32 v[46:47], v[18:19], v[6:7]
	v_pk_add_f32 v[18:19], v[18:19], v[6:7] neg_lo:[0,1] neg_hi:[0,1]
	v_mov_b32_e32 v6, v20
	v_mov_b32_e32 v7, v15
	;; [unrolled: 1-line block ×4, first 2 shown]
	v_pk_add_f32 v[50:51], v[6:7], v[12:13] neg_lo:[0,1] neg_hi:[0,1]
	v_pk_add_f32 v[12:13], v[6:7], v[12:13]
	v_mov_b32_e32 v6, v30
	v_mov_b32_e32 v7, v5
	;; [unrolled: 1-line block ×4, first 2 shown]
	v_mad_u32_u24 v0, v56, 56, 0
	v_pk_add_f32 v[52:53], v[6:7], v[14:15] neg_lo:[0,1] neg_hi:[0,1]
	v_pk_add_f32 v[14:15], v[6:7], v[14:15]
	v_lshl_add_u32 v1, v3, 3, v0
	v_mov_b32_e32 v41, v9
	v_mov_b32_e32 v43, v11
	;; [unrolled: 1-line block ×6, first 2 shown]
	v_cmp_gt_u32_e64 s[0:1], 7, v56
	ds_write_b64 v1, v[36:37]
	ds_write2_b64 v1, v[40:41], v[42:43] offset0:1 offset1:2
	ds_write2_b64 v1, v[44:45], v[46:47] offset0:3 offset1:4
	ds_write2_b64 v1, v[50:51], v[52:53] offset0:5 offset1:6
	s_waitcnt lgkmcnt(0)
	s_barrier
	s_waitcnt lgkmcnt(0)
                                        ; implicit-def: $vgpr49
                                        ; implicit-def: $vgpr54
                                        ; implicit-def: $vgpr6
                                        ; implicit-def: $vgpr2
	s_and_saveexec_b64 s[2:3], s[0:1]
	s_cbranch_execnz .LBB0_13
; %bb.11:
	s_or_b64 exec, exec, s[2:3]
	s_and_b64 s[0:1], vcc, s[0:1]
	s_and_saveexec_b64 s[2:3], s[0:1]
	s_cbranch_execnz .LBB0_14
.LBB0_12:
	s_endpgm
.LBB0_13:
	v_lshlrev_b32_e32 v1, 3, v3
	v_lshlrev_b32_e32 v2, 3, v56
	v_add3_u32 v2, 0, v1, v2
	ds_read_b64 v[36:37], v2
	v_mul_i32_i24_e32 v2, 0xffffffd0, v56
	v_add3_u32 v20, v0, v2, v1
	ds_read2_b64 v[8:11], v20 offset0:7 offset1:14
	ds_read2_b64 v[16:19], v20 offset0:21 offset1:28
	;; [unrolled: 1-line block ×5, first 2 shown]
	ds_read2_b32 v[48:49], v20 offset0:98 offset1:99
	ds_read_b64 v[54:55], v20 offset:672
	s_waitcnt lgkmcnt(4)
	v_mov_b32_e32 v52, v14
	v_mov_b32_e32 v50, v12
	;; [unrolled: 1-line block ×6, first 2 shown]
	s_or_b64 exec, exec, s[2:3]
	s_and_b64 s[0:1], vcc, s[0:1]
	s_and_saveexec_b64 s[2:3], s[0:1]
	s_cbranch_execz .LBB0_12
.LBB0_14:
	v_mul_u32_u24_e32 v8, 12, v56
	v_lshlrev_b32_e32 v8, 3, v8
	global_load_dwordx4 v[32:35], v8, s[4:5]
	global_load_dwordx4 v[28:31], v8, s[4:5] offset:80
	global_load_dwordx4 v[24:27], v8, s[4:5] offset:16
	;; [unrolled: 1-line block ×5, first 2 shown]
	s_waitcnt lgkmcnt(2)
	v_mov_b32_e32 v66, v5
	v_mov_b32_e32 v68, v3
	;; [unrolled: 1-line block ×3, first 2 shown]
	v_mad_u64_u32 v[78:79], s[0:1], s8, v56, 0
	v_add_u32_e32 v1, 7, v56
	v_add_u32_e32 v3, 14, v56
	;; [unrolled: 1-line block ×3, first 2 shown]
	v_mov_b32_e32 v80, v79
	v_mad_u64_u32 v[82:83], s[0:1], s8, v1, 0
	v_mad_u64_u32 v[84:85], s[0:1], s8, v3, 0
	;; [unrolled: 1-line block ×3, first 2 shown]
	s_waitcnt lgkmcnt(0)
	v_mov_b32_e32 v12, v55
	v_mov_b32_e32 v14, v7
	;; [unrolled: 1-line block ×4, first 2 shown]
	v_mad_u64_u32 v[80:81], s[0:1], s9, v56, v[80:81]
	v_mov_b32_e32 v88, v83
	v_mov_b32_e32 v90, v85
	;; [unrolled: 1-line block ×7, first 2 shown]
	v_add_u32_e32 v7, 28, v56
	v_mov_b32_e32 v79, v80
	v_mad_u64_u32 v[80:81], s[0:1], s9, v1, v[88:89]
	v_mad_u64_u32 v[88:89], s[0:1], s9, v3, v[90:91]
	;; [unrolled: 1-line block ×3, first 2 shown]
	v_mov_b32_e32 v85, v88
	v_mov_b32_e32 v87, v90
	;; [unrolled: 1-line block ×4, first 2 shown]
	s_mov_b32 s4, 0x3f62ad3f
	s_mov_b32 s22, 0xbf52af12
	s_mov_b32 s24, 0xbf7e222b
	s_mov_b32 s2, 0x3df6dbef
	s_mov_b32 s10, 0xbf6f5d39
	s_mov_b32 s6, 0xbeb58ec6
	s_mov_b32 s14, 0xbf29c268
	s_mov_b32 s16, 0xbe750f2a
	s_mov_b32 s12, 0xbf788fa5
	s_mov_b32 s26, 0x3f29c268
	s_mov_b32 s18, 0x3f7e222b
	s_mov_b32 s20, 0x3eedf032
	s_mov_b32 s28, 0x3f6f5d39
	s_waitcnt vmcnt(5)
	v_pk_mul_f32 v[8:9], v[8:9], v[32:33] op_sel_hi:[0,1]
	s_waitcnt vmcnt(4)
	v_pk_mul_f32 v[12:13], v[12:13], v[30:31] op_sel_hi:[0,1]
	v_pk_mul_f32 v[14:15], v[14:15], v[28:29] op_sel_hi:[0,1]
	s_waitcnt vmcnt(3)
	v_pk_mul_f32 v[16:17], v[16:17], v[24:25] op_sel_hi:[0,1]
	;; [unrolled: 3-line block ×3, first 2 shown]
	s_waitcnt vmcnt(1)
	v_pk_mul_f32 v[70:71], v[70:71], v[60:61] op_sel_hi:[0,1]
	v_pk_mul_f32 v[10:11], v[10:11], v[34:35] op_sel_hi:[0,1]
	v_pk_mul_f32 v[68:69], v[68:69], v[20:21] op_sel_hi:[0,1]
	v_pk_fma_f32 v[88:89], v[54:55], v[30:31], v[12:13] op_sel:[0,0,1] op_sel_hi:[1,1,0] neg_lo:[0,0,1] neg_hi:[0,0,1]
	v_pk_fma_f32 v[30:31], v[54:55], v[30:31], v[12:13] op_sel:[0,0,1] op_sel_hi:[0,1,0]
	v_pk_fma_f32 v[54:55], v[6:7], v[28:29], v[14:15] op_sel:[0,0,1] op_sel_hi:[1,1,0] neg_lo:[0,0,1] neg_hi:[0,0,1]
	v_pk_fma_f32 v[14:15], v[6:7], v[28:29], v[14:15] op_sel:[0,0,1] op_sel_hi:[0,1,0]
	;; [unrolled: 2-line block ×6, first 2 shown]
	v_mad_u64_u32 v[0:1], s[0:1], s8, v7, 0
	v_pk_fma_f32 v[80:81], v[40:41], v[32:33], v[8:9] op_sel:[0,0,1] op_sel_hi:[1,1,0] neg_lo:[0,0,1] neg_hi:[0,0,1]
	v_pk_fma_f32 v[32:33], v[40:41], v[32:33], v[8:9] op_sel:[0,0,1] op_sel_hi:[0,1,0]
	v_pk_fma_f32 v[40:41], v[42:43], v[34:35], v[10:11] op_sel:[0,0,1] op_sel_hi:[1,1,0] neg_lo:[0,0,1] neg_hi:[0,0,1]
	v_pk_fma_f32 v[34:35], v[42:43], v[34:35], v[10:11] op_sel:[0,0,1] op_sel_hi:[0,1,0]
	;; [unrolled: 2-line block ×3, first 2 shown]
	v_mov_b32_e32 v2, v1
	v_mad_u64_u32 v[2:3], s[0:1], s9, v7, v[2:3]
	v_add_u32_e32 v5, 35, v56
	v_mov_b32_e32 v1, v2
	v_mad_u64_u32 v[2:3], s[0:1], s8, v5, 0
	v_mov_b32_e32 v4, v3
	v_mad_u64_u32 v[4:5], s[0:1], s9, v5, v[4:5]
	v_add_u32_e32 v7, 42, v56
	v_mov_b32_e32 v3, v4
	v_mad_u64_u32 v[4:5], s[0:1], s8, v7, 0
	;; [unrolled: 5-line block ×3, first 2 shown]
	v_mov_b32_e32 v8, v7
	v_mad_u64_u32 v[8:9], s[0:1], s9, v9, v[8:9]
	v_or_b32_e32 v11, 56, v56
	v_mov_b32_e32 v7, v8
	v_mad_u64_u32 v[8:9], s[0:1], s8, v11, 0
	v_mov_b32_e32 v10, v9
	v_mad_u64_u32 v[10:11], s[0:1], s9, v11, v[10:11]
	v_add_u32_e32 v13, 63, v56
	v_mov_b32_e32 v9, v10
	v_mad_u64_u32 v[10:11], s[0:1], s8, v13, 0
	v_mov_b32_e32 v12, v11
	v_mad_u64_u32 v[12:13], s[0:1], s9, v13, v[12:13]
	v_add_u32_e32 v16, 0x46, v56
	v_mov_b32_e32 v81, v33
	v_mov_b32_e32 v11, v12
	v_mad_u64_u32 v[12:13], s[0:1], s8, v16, 0
	v_mov_b32_e32 v41, v35
	v_mov_b32_e32 v93, v25
	v_pk_add_f32 v[24:25], v[36:37], v[80:81]
	s_waitcnt vmcnt(0)
	v_pk_mul_f32 v[74:75], v[74:75], v[62:63] op_sel_hi:[0,1]
	v_mov_b32_e32 v14, v13
	v_mov_b32_e32 v91, v17
	v_pk_add_f32 v[24:25], v[24:25], v[40:41]
	v_pk_mul_f32 v[76:77], v[76:77], v[64:65] op_sel_hi:[0,1]
	v_pk_fma_f32 v[68:69], v[50:51], v[62:63], v[74:75] op_sel:[0,0,1] op_sel_hi:[1,1,0] neg_lo:[0,0,1] neg_hi:[0,0,1]
	v_pk_fma_f32 v[62:63], v[50:51], v[62:63], v[74:75] op_sel:[0,0,1] op_sel_hi:[0,1,0]
	v_mad_u64_u32 v[22:23], s[0:1], s9, v16, v[14:15]
	v_add_u32_e32 v16, 0x4d, v56
	v_mov_b32_e32 v29, v19
	v_pk_add_f32 v[24:25], v[24:25], v[90:91]
	v_pk_mul_f32 v[72:73], v[72:73], v[58:59] op_sel_hi:[0,1]
	v_pk_fma_f32 v[70:71], v[52:53], v[64:65], v[76:77] op_sel:[0,0,1] op_sel_hi:[1,1,0] neg_lo:[0,0,1] neg_hi:[0,0,1]
	v_pk_fma_f32 v[52:53], v[52:53], v[64:65], v[76:77] op_sel:[0,0,1] op_sel_hi:[0,1,0]
	v_mad_u64_u32 v[64:65], s[0:1], s8, v16, 0
	v_mov_b32_e32 v69, v63
	v_pk_add_f32 v[24:25], v[24:25], v[28:29]
	v_pk_fma_f32 v[60:61], v[48:49], v[58:59], v[72:73] op_sel:[0,0,1] op_sel_hi:[1,1,0] neg_lo:[0,0,1] neg_hi:[0,0,1]
	v_pk_fma_f32 v[58:59], v[48:49], v[58:59], v[72:73] op_sel:[0,0,1] op_sel_hi:[0,1,0]
	v_mov_b32_e32 v14, v65
	v_mov_b32_e32 v71, v53
	v_pk_add_f32 v[24:25], v[24:25], v[68:69]
	v_mov_b32_e32 v13, v22
	v_mad_u64_u32 v[22:23], s[0:1], s9, v16, v[14:15]
	v_add_u32_e32 v16, 0x54, v56
	v_mov_b32_e32 v67, v27
	v_mov_b32_e32 v61, v59
	v_pk_add_f32 v[26:27], v[24:25], v[70:71]
	v_mad_u64_u32 v[56:57], s[0:1], s8, v16, 0
	v_mov_b32_e32 v89, v31
	v_pk_add_f32 v[30:31], v[26:27], v[60:61]
	v_mov_b32_e32 v14, v57
	v_mov_b32_e32 v43, v21
	v_pk_add_f32 v[30:31], v[66:67], v[30:31]
	v_mov_b32_e32 v65, v22
	v_mad_u64_u32 v[22:23], s[0:1], s9, v16, v[14:15]
	v_pk_add_f32 v[34:35], v[42:43], v[30:31]
	v_mov_b32_e32 v55, v15
	v_pk_add_f32 v[18:19], v[80:81], v[88:89] neg_lo:[0,1] neg_hi:[0,1]
	s_mov_b32 s0, 0xbeedf032
	v_pk_add_f32 v[34:35], v[92:93], v[34:35]
	v_mov_b32_e32 v57, v22
	v_pk_add_f32 v[14:15], v[80:81], v[88:89]
	v_pk_add_f32 v[20:21], v[40:41], v[54:55] neg_lo:[0,1] neg_hi:[0,1]
	v_pk_mul_f32 v[52:53], v[18:19], s[0:1] op_sel:[1,0] op_sel_hi:[0,0]
	v_pk_add_f32 v[34:35], v[54:55], v[34:35]
	v_lshl_add_u64 v[72:73], v[78:79], 3, v[38:39]
	v_lshl_add_u64 v[44:45], v[0:1], 3, v[38:39]
	;; [unrolled: 1-line block ×6, first 2 shown]
	v_pk_add_f32 v[16:17], v[40:41], v[54:55]
	s_mov_b32 s0, 0x3f116cb1
	v_pk_mul_f32 v[54:55], v[20:21], s[22:23] op_sel:[1,0] op_sel_hi:[0,0]
	v_pk_add_f32 v[34:35], v[88:89], v[34:35]
	v_pk_fma_f32 v[56:57], v[14:15], s[4:5], v[52:53] op_sel_hi:[1,0,1]
	v_pk_fma_f32 v[52:53], v[14:15], s[4:5], v[52:53] op_sel_hi:[1,0,1] neg_lo:[0,0,1] neg_hi:[0,0,1]
	global_store_dwordx2 v[72:73], v[34:35], off
	v_mov_b32_e32 v34, v56
	v_mov_b32_e32 v35, v53
	v_pk_fma_f32 v[58:59], v[16:17], s[0:1], v[54:55] op_sel_hi:[1,0,1]
	v_pk_fma_f32 v[54:55], v[16:17], s[0:1], v[54:55] op_sel_hi:[1,0,1] neg_lo:[0,0,1] neg_hi:[0,0,1]
	v_pk_add_f32 v[32:33], v[70:71], v[60:61] neg_lo:[0,1] neg_hi:[0,1]
	v_pk_add_f32 v[24:25], v[70:71], v[60:61]
	v_pk_add_f32 v[40:41], v[28:29], v[42:43] neg_lo:[0,1] neg_hi:[0,1]
	v_pk_add_f32 v[28:29], v[28:29], v[42:43]
	;; [unrolled: 2-line block ×3, first 2 shown]
	v_mov_b32_e32 v60, v58
	v_mov_b32_e32 v61, v55
	v_pk_add_f32 v[30:31], v[90:91], v[92:93]
	v_pk_add_f32 v[34:35], v[34:35], v[60:61]
	v_pk_mul_f32 v[60:61], v[42:43], s[24:25] op_sel:[1,0] op_sel_hi:[0,0]
	v_pk_fma_f32 v[62:63], v[30:31], s[2:3], v[60:61] op_sel_hi:[1,0,1]
	v_pk_fma_f32 v[60:61], v[30:31], s[2:3], v[60:61] op_sel_hi:[1,0,1] neg_lo:[0,0,1] neg_hi:[0,0,1]
	v_lshl_add_u64 v[22:23], v[2:3], 3, v[38:39]
	v_lshl_add_u64 v[2:3], v[6:7], 3, v[38:39]
	;; [unrolled: 1-line block ×4, first 2 shown]
	v_mov_b32_e32 v64, v62
	v_mov_b32_e32 v65, v61
	v_pk_add_f32 v[34:35], v[34:35], v[64:65]
	v_pk_mul_f32 v[64:65], v[40:41], s[10:11] op_sel:[1,0] op_sel_hi:[0,0]
	v_lshl_add_u64 v[46:47], v[82:83], 3, v[38:39]
	v_lshl_add_u64 v[50:51], v[84:85], 3, v[38:39]
	;; [unrolled: 1-line block ×3, first 2 shown]
	v_pk_add_f32 v[38:39], v[68:69], v[66:67] neg_lo:[0,1] neg_hi:[0,1]
	v_pk_add_f32 v[26:27], v[68:69], v[66:67]
	v_pk_fma_f32 v[66:67], v[28:29], s[6:7], v[64:65] op_sel_hi:[1,0,1]
	v_pk_fma_f32 v[64:65], v[28:29], s[6:7], v[64:65] op_sel_hi:[1,0,1] neg_lo:[0,0,1] neg_hi:[0,0,1]
	v_mov_b32_e32 v68, v66
	v_mov_b32_e32 v69, v65
	v_pk_add_f32 v[34:35], v[34:35], v[68:69]
	s_mov_b32 s8, 0xbf3f9e67
	v_pk_mul_f32 v[68:69], v[38:39], s[14:15] op_sel:[1,0] op_sel_hi:[0,0]
	v_mov_b32_e32 v53, v57
	v_pk_fma_f32 v[70:71], v[26:27], s[8:9], v[68:69] op_sel_hi:[1,0,1]
	v_pk_fma_f32 v[68:69], v[26:27], s[8:9], v[68:69] op_sel_hi:[1,0,1] neg_lo:[0,0,1] neg_hi:[0,0,1]
	v_mov_b32_e32 v55, v59
	v_pk_add_f32 v[52:53], v[36:37], v[52:53]
	v_mov_b32_e32 v72, v70
	v_mov_b32_e32 v73, v69
	v_pk_add_f32 v[52:53], v[52:53], v[54:55]
	v_mov_b32_e32 v61, v63
	v_pk_add_f32 v[34:35], v[34:35], v[72:73]
	v_pk_mul_f32 v[72:73], v[32:33], s[16:17] op_sel:[1,0] op_sel_hi:[0,0]
	v_pk_add_f32 v[52:53], v[52:53], v[60:61]
	v_mov_b32_e32 v65, v67
	v_pk_fma_f32 v[74:75], v[24:25], s[12:13], v[72:73] op_sel_hi:[1,0,1]
	v_pk_fma_f32 v[72:73], v[24:25], s[12:13], v[72:73] op_sel_hi:[1,0,1] neg_lo:[0,0,1] neg_hi:[0,0,1]
	v_pk_add_f32 v[52:53], v[52:53], v[64:65]
	v_mov_b32_e32 v69, v71
	v_mov_b32_e32 v77, v73
	v_pk_add_f32 v[52:53], v[52:53], v[68:69]
	v_mov_b32_e32 v73, v75
	v_pk_add_f32 v[52:53], v[52:53], v[72:73]
	global_store_dwordx2 v[46:47], v[52:53], off
	v_pk_mul_f32 v[46:47], v[18:19], s[22:23] op_sel:[1,0] op_sel_hi:[0,0]
	v_pk_mul_f32 v[52:53], v[20:21], s[10:11] op_sel:[1,0] op_sel_hi:[0,0]
	v_pk_fma_f32 v[54:55], v[14:15], s[0:1], v[46:47] op_sel_hi:[1,0,1]
	v_pk_fma_f32 v[56:57], v[14:15], s[0:1], v[46:47] op_sel_hi:[1,0,1] neg_lo:[0,0,1] neg_hi:[0,0,1]
	v_mov_b32_e32 v46, v54
	v_mov_b32_e32 v47, v57
	v_pk_fma_f32 v[58:59], v[16:17], s[6:7], v[52:53] op_sel_hi:[1,0,1]
	v_pk_fma_f32 v[52:53], v[16:17], s[6:7], v[52:53] op_sel_hi:[1,0,1] neg_lo:[0,0,1] neg_hi:[0,0,1]
	v_pk_add_f32 v[46:47], v[36:37], v[46:47]
	v_mov_b32_e32 v60, v58
	v_mov_b32_e32 v61, v53
	v_pk_add_f32 v[46:47], v[46:47], v[60:61]
	v_pk_mul_f32 v[60:61], v[42:43], s[16:17] op_sel:[1,0] op_sel_hi:[0,0]
	v_pk_fma_f32 v[62:63], v[30:31], s[12:13], v[60:61] op_sel_hi:[1,0,1]
	v_pk_fma_f32 v[60:61], v[30:31], s[12:13], v[60:61] op_sel_hi:[1,0,1] neg_lo:[0,0,1] neg_hi:[0,0,1]
	v_mov_b32_e32 v64, v62
	v_mov_b32_e32 v65, v61
	v_pk_add_f32 v[46:47], v[46:47], v[64:65]
	v_pk_mul_f32 v[64:65], v[40:41], s[26:27] op_sel:[1,0] op_sel_hi:[0,0]
	v_pk_fma_f32 v[66:67], v[28:29], s[8:9], v[64:65] op_sel_hi:[1,0,1]
	v_pk_fma_f32 v[64:65], v[28:29], s[8:9], v[64:65] op_sel_hi:[1,0,1] neg_lo:[0,0,1] neg_hi:[0,0,1]
	v_mov_b32_e32 v68, v66
	v_mov_b32_e32 v69, v65
	v_pk_add_f32 v[46:47], v[46:47], v[68:69]
	v_pk_mul_f32 v[68:69], v[38:39], s[18:19] op_sel:[1,0] op_sel_hi:[0,0]
	v_mov_b32_e32 v57, v55
	v_pk_fma_f32 v[70:71], v[26:27], s[2:3], v[68:69] op_sel_hi:[1,0,1]
	v_pk_fma_f32 v[68:69], v[26:27], s[2:3], v[68:69] op_sel_hi:[1,0,1] neg_lo:[0,0,1] neg_hi:[0,0,1]
	v_mov_b32_e32 v53, v59
	v_pk_add_f32 v[54:55], v[36:37], v[56:57]
	v_mov_b32_e32 v72, v70
	v_mov_b32_e32 v73, v69
	v_pk_add_f32 v[52:53], v[54:55], v[52:53]
	v_mov_b32_e32 v61, v63
	v_pk_add_f32 v[46:47], v[46:47], v[72:73]
	v_pk_mul_f32 v[72:73], v[32:33], s[20:21] op_sel:[1,0] op_sel_hi:[0,0]
	v_pk_add_f32 v[52:53], v[52:53], v[60:61]
	v_mov_b32_e32 v65, v67
	v_mov_b32_e32 v76, v74
	v_pk_fma_f32 v[74:75], v[24:25], s[4:5], v[72:73] op_sel_hi:[1,0,1]
	v_pk_fma_f32 v[72:73], v[24:25], s[4:5], v[72:73] op_sel_hi:[1,0,1] neg_lo:[0,0,1] neg_hi:[0,0,1]
	v_pk_add_f32 v[52:53], v[52:53], v[64:65]
	v_mov_b32_e32 v69, v71
	v_pk_add_f32 v[34:35], v[34:35], v[76:77]
	v_mov_b32_e32 v77, v73
	;; [unrolled: 2-line block ×3, first 2 shown]
	v_pk_add_f32 v[52:53], v[52:53], v[72:73]
	global_store_dwordx2 v[50:51], v[52:53], off
	v_pk_mul_f32 v[50:51], v[18:19], s[24:25] op_sel:[1,0] op_sel_hi:[0,0]
	v_pk_mul_f32 v[52:53], v[20:21], s[16:17] op_sel:[1,0] op_sel_hi:[0,0]
	v_pk_fma_f32 v[54:55], v[14:15], s[2:3], v[50:51] op_sel_hi:[1,0,1]
	v_pk_fma_f32 v[56:57], v[14:15], s[2:3], v[50:51] op_sel_hi:[1,0,1] neg_lo:[0,0,1] neg_hi:[0,0,1]
	v_mov_b32_e32 v50, v54
	v_mov_b32_e32 v51, v57
	v_pk_fma_f32 v[58:59], v[16:17], s[12:13], v[52:53] op_sel_hi:[1,0,1]
	v_pk_fma_f32 v[52:53], v[16:17], s[12:13], v[52:53] op_sel_hi:[1,0,1] neg_lo:[0,0,1] neg_hi:[0,0,1]
	v_pk_add_f32 v[50:51], v[36:37], v[50:51]
	v_mov_b32_e32 v60, v58
	v_mov_b32_e32 v61, v53
	v_pk_add_f32 v[50:51], v[50:51], v[60:61]
	v_pk_mul_f32 v[60:61], v[42:43], s[28:29] op_sel:[1,0] op_sel_hi:[0,0]
	v_pk_fma_f32 v[62:63], v[30:31], s[6:7], v[60:61] op_sel_hi:[1,0,1]
	v_pk_fma_f32 v[60:61], v[30:31], s[6:7], v[60:61] op_sel_hi:[1,0,1] neg_lo:[0,0,1] neg_hi:[0,0,1]
	v_mov_b32_e32 v64, v62
	v_mov_b32_e32 v65, v61
	v_pk_add_f32 v[50:51], v[50:51], v[64:65]
	v_pk_mul_f32 v[64:65], v[40:41], s[20:21] op_sel:[1,0] op_sel_hi:[0,0]
	v_pk_fma_f32 v[66:67], v[28:29], s[4:5], v[64:65] op_sel_hi:[1,0,1]
	v_pk_fma_f32 v[64:65], v[28:29], s[4:5], v[64:65] op_sel_hi:[1,0,1] neg_lo:[0,0,1] neg_hi:[0,0,1]
	v_mov_b32_e32 v68, v66
	v_mov_b32_e32 v69, v65
	v_pk_add_f32 v[50:51], v[50:51], v[68:69]
	v_pk_mul_f32 v[68:69], v[38:39], s[22:23] op_sel:[1,0] op_sel_hi:[0,0]
	v_mov_b32_e32 v57, v55
	v_pk_fma_f32 v[70:71], v[26:27], s[0:1], v[68:69] op_sel_hi:[1,0,1]
	v_pk_fma_f32 v[68:69], v[26:27], s[0:1], v[68:69] op_sel_hi:[1,0,1] neg_lo:[0,0,1] neg_hi:[0,0,1]
	v_mov_b32_e32 v53, v59
	v_pk_add_f32 v[54:55], v[36:37], v[56:57]
	v_mov_b32_e32 v72, v70
	v_mov_b32_e32 v73, v69
	v_pk_add_f32 v[52:53], v[54:55], v[52:53]
	v_mov_b32_e32 v61, v63
	v_pk_add_f32 v[50:51], v[50:51], v[72:73]
	v_pk_mul_f32 v[72:73], v[32:33], s[14:15] op_sel:[1,0] op_sel_hi:[0,0]
	v_pk_add_f32 v[52:53], v[52:53], v[60:61]
	v_mov_b32_e32 v65, v67
	v_mov_b32_e32 v76, v74
	v_pk_fma_f32 v[74:75], v[24:25], s[8:9], v[72:73] op_sel_hi:[1,0,1]
	v_pk_fma_f32 v[72:73], v[24:25], s[8:9], v[72:73] op_sel_hi:[1,0,1] neg_lo:[0,0,1] neg_hi:[0,0,1]
	v_pk_add_f32 v[52:53], v[52:53], v[64:65]
	v_mov_b32_e32 v69, v71
	v_pk_add_f32 v[46:47], v[46:47], v[76:77]
	v_mov_b32_e32 v77, v73
	;; [unrolled: 2-line block ×3, first 2 shown]
	v_pk_add_f32 v[52:53], v[52:53], v[72:73]
	global_store_dwordx2 v[48:49], v[52:53], off
	v_pk_mul_f32 v[48:49], v[18:19], s[10:11] op_sel:[1,0] op_sel_hi:[0,0]
	v_pk_mul_f32 v[52:53], v[20:21], s[26:27] op_sel:[1,0] op_sel_hi:[0,0]
	v_pk_fma_f32 v[54:55], v[14:15], s[6:7], v[48:49] op_sel_hi:[1,0,1]
	v_pk_fma_f32 v[56:57], v[14:15], s[6:7], v[48:49] op_sel_hi:[1,0,1] neg_lo:[0,0,1] neg_hi:[0,0,1]
	v_mov_b32_e32 v48, v54
	v_mov_b32_e32 v49, v57
	v_pk_fma_f32 v[58:59], v[16:17], s[8:9], v[52:53] op_sel_hi:[1,0,1]
	v_pk_fma_f32 v[52:53], v[16:17], s[8:9], v[52:53] op_sel_hi:[1,0,1] neg_lo:[0,0,1] neg_hi:[0,0,1]
	v_pk_add_f32 v[48:49], v[36:37], v[48:49]
	v_mov_b32_e32 v60, v58
	v_mov_b32_e32 v61, v53
	v_pk_add_f32 v[48:49], v[48:49], v[60:61]
	v_pk_mul_f32 v[60:61], v[42:43], s[20:21] op_sel:[1,0] op_sel_hi:[0,0]
	v_pk_fma_f32 v[62:63], v[30:31], s[4:5], v[60:61] op_sel_hi:[1,0,1]
	v_pk_fma_f32 v[60:61], v[30:31], s[4:5], v[60:61] op_sel_hi:[1,0,1] neg_lo:[0,0,1] neg_hi:[0,0,1]
	v_mov_b32_e32 v64, v62
	v_mov_b32_e32 v65, v61
	v_pk_add_f32 v[48:49], v[48:49], v[64:65]
	v_pk_mul_f32 v[64:65], v[40:41], s[24:25] op_sel:[1,0] op_sel_hi:[0,0]
	v_pk_fma_f32 v[66:67], v[28:29], s[2:3], v[64:65] op_sel_hi:[1,0,1]
	v_pk_fma_f32 v[64:65], v[28:29], s[2:3], v[64:65] op_sel_hi:[1,0,1] neg_lo:[0,0,1] neg_hi:[0,0,1]
	v_mov_b32_e32 v68, v66
	v_mov_b32_e32 v69, v65
	s_mov_b32 s26, 0x3e750f2a
	v_pk_add_f32 v[48:49], v[48:49], v[68:69]
	v_pk_mul_f32 v[68:69], v[38:39], s[26:27] op_sel:[1,0] op_sel_hi:[0,0]
	v_mov_b32_e32 v57, v55
	v_pk_fma_f32 v[70:71], v[26:27], s[12:13], v[68:69] op_sel_hi:[1,0,1]
	v_pk_fma_f32 v[68:69], v[26:27], s[12:13], v[68:69] op_sel_hi:[1,0,1] neg_lo:[0,0,1] neg_hi:[0,0,1]
	v_mov_b32_e32 v53, v59
	v_pk_add_f32 v[54:55], v[36:37], v[56:57]
	v_mov_b32_e32 v72, v70
	v_mov_b32_e32 v73, v69
	s_mov_b32 s24, 0x3f52af12
	v_pk_add_f32 v[52:53], v[54:55], v[52:53]
	v_mov_b32_e32 v61, v63
	v_pk_add_f32 v[48:49], v[48:49], v[72:73]
	v_pk_mul_f32 v[72:73], v[32:33], s[24:25] op_sel:[1,0] op_sel_hi:[0,0]
	v_pk_add_f32 v[52:53], v[52:53], v[60:61]
	v_mov_b32_e32 v65, v67
	v_mov_b32_e32 v76, v74
	v_pk_fma_f32 v[74:75], v[24:25], s[0:1], v[72:73] op_sel_hi:[1,0,1]
	v_pk_fma_f32 v[72:73], v[24:25], s[0:1], v[72:73] op_sel_hi:[1,0,1] neg_lo:[0,0,1] neg_hi:[0,0,1]
	v_pk_add_f32 v[52:53], v[52:53], v[64:65]
	v_mov_b32_e32 v69, v71
	v_pk_add_f32 v[50:51], v[50:51], v[76:77]
	v_mov_b32_e32 v77, v73
	;; [unrolled: 2-line block ×3, first 2 shown]
	v_pk_add_f32 v[52:53], v[52:53], v[72:73]
	global_store_dwordx2 v[44:45], v[52:53], off
	v_pk_mul_f32 v[44:45], v[18:19], s[14:15] op_sel:[1,0] op_sel_hi:[0,0]
	v_pk_mul_f32 v[52:53], v[20:21], s[18:19] op_sel:[1,0] op_sel_hi:[0,0]
	v_pk_fma_f32 v[54:55], v[14:15], s[8:9], v[44:45] op_sel_hi:[1,0,1]
	v_pk_fma_f32 v[44:45], v[14:15], s[8:9], v[44:45] op_sel_hi:[1,0,1] neg_lo:[0,0,1] neg_hi:[0,0,1]
	v_mov_b32_e32 v56, v54
	v_mov_b32_e32 v57, v45
	v_pk_fma_f32 v[58:59], v[16:17], s[2:3], v[52:53] op_sel_hi:[1,0,1]
	v_pk_fma_f32 v[52:53], v[16:17], s[2:3], v[52:53] op_sel_hi:[1,0,1] neg_lo:[0,0,1] neg_hi:[0,0,1]
	v_pk_add_f32 v[56:57], v[36:37], v[56:57]
	v_mov_b32_e32 v60, v58
	v_mov_b32_e32 v61, v53
	v_pk_add_f32 v[56:57], v[56:57], v[60:61]
	v_pk_mul_f32 v[60:61], v[42:43], s[22:23] op_sel:[1,0] op_sel_hi:[0,0]
	v_pk_fma_f32 v[62:63], v[30:31], s[0:1], v[60:61] op_sel_hi:[1,0,1]
	v_pk_fma_f32 v[60:61], v[30:31], s[0:1], v[60:61] op_sel_hi:[1,0,1] neg_lo:[0,0,1] neg_hi:[0,0,1]
	v_mov_b32_e32 v64, v62
	v_mov_b32_e32 v65, v61
	v_pk_add_f32 v[56:57], v[56:57], v[64:65]
	v_pk_mul_f32 v[64:65], v[40:41], s[26:27] op_sel:[1,0] op_sel_hi:[0,0]
	v_pk_fma_f32 v[66:67], v[28:29], s[12:13], v[64:65] op_sel_hi:[1,0,1]
	v_pk_fma_f32 v[64:65], v[28:29], s[12:13], v[64:65] op_sel_hi:[1,0,1] neg_lo:[0,0,1] neg_hi:[0,0,1]
	v_mov_b32_e32 v68, v66
	v_mov_b32_e32 v69, v65
	v_pk_add_f32 v[56:57], v[56:57], v[68:69]
	v_pk_mul_f32 v[68:69], v[38:39], s[20:21] op_sel:[1,0] op_sel_hi:[0,0]
	v_mov_b32_e32 v45, v55
	v_pk_fma_f32 v[70:71], v[26:27], s[4:5], v[68:69] op_sel_hi:[1,0,1]
	v_pk_fma_f32 v[68:69], v[26:27], s[4:5], v[68:69] op_sel_hi:[1,0,1] neg_lo:[0,0,1] neg_hi:[0,0,1]
	v_mov_b32_e32 v53, v59
	v_pk_add_f32 v[44:45], v[36:37], v[44:45]
	v_mov_b32_e32 v72, v70
	v_mov_b32_e32 v73, v69
	v_pk_add_f32 v[44:45], v[44:45], v[52:53]
	v_mov_b32_e32 v61, v63
	v_pk_add_f32 v[56:57], v[56:57], v[72:73]
	v_pk_mul_f32 v[72:73], v[32:33], s[10:11] op_sel:[1,0] op_sel_hi:[0,0]
	v_pk_add_f32 v[44:45], v[44:45], v[60:61]
	v_mov_b32_e32 v65, v67
	v_mov_b32_e32 v76, v74
	v_pk_fma_f32 v[74:75], v[24:25], s[6:7], v[72:73] op_sel_hi:[1,0,1]
	v_pk_fma_f32 v[72:73], v[24:25], s[6:7], v[72:73] op_sel_hi:[1,0,1] neg_lo:[0,0,1] neg_hi:[0,0,1]
	v_pk_add_f32 v[44:45], v[44:45], v[64:65]
	v_mov_b32_e32 v69, v71
	v_pk_add_f32 v[48:49], v[48:49], v[76:77]
	v_mov_b32_e32 v77, v73
	;; [unrolled: 2-line block ×3, first 2 shown]
	v_pk_add_f32 v[44:45], v[44:45], v[72:73]
	v_pk_mul_f32 v[18:19], v[18:19], s[16:17] op_sel:[1,0] op_sel_hi:[0,0]
	global_store_dwordx2 v[22:23], v[44:45], off
	v_pk_mul_f32 v[20:21], v[20:21], s[20:21] op_sel:[1,0] op_sel_hi:[0,0]
	v_pk_mul_f32 v[22:23], v[42:43], s[14:15] op_sel:[1,0] op_sel_hi:[0,0]
	v_pk_fma_f32 v[42:43], v[14:15], s[12:13], v[18:19] op_sel_hi:[1,0,1]
	v_pk_fma_f32 v[14:15], v[14:15], s[12:13], v[18:19] op_sel_hi:[1,0,1] neg_lo:[0,0,1] neg_hi:[0,0,1]
	v_mov_b32_e32 v18, v42
	v_mov_b32_e32 v19, v15
	v_pk_fma_f32 v[44:45], v[16:17], s[4:5], v[20:21] op_sel_hi:[1,0,1]
	v_pk_fma_f32 v[16:17], v[16:17], s[4:5], v[20:21] op_sel_hi:[1,0,1] neg_lo:[0,0,1] neg_hi:[0,0,1]
	v_pk_add_f32 v[18:19], v[36:37], v[18:19]
	v_mov_b32_e32 v20, v44
	v_mov_b32_e32 v21, v17
	v_pk_add_f32 v[18:19], v[18:19], v[20:21]
	v_pk_fma_f32 v[20:21], v[30:31], s[8:9], v[22:23] op_sel_hi:[1,0,1]
	v_pk_fma_f32 v[22:23], v[30:31], s[8:9], v[22:23] op_sel_hi:[1,0,1] neg_lo:[0,0,1] neg_hi:[0,0,1]
	v_pk_mul_f32 v[40:41], v[40:41], s[24:25] op_sel:[1,0] op_sel_hi:[0,0]
	v_mov_b32_e32 v30, v20
	v_mov_b32_e32 v31, v23
	v_pk_add_f32 v[18:19], v[18:19], v[30:31]
	v_pk_fma_f32 v[30:31], v[28:29], s[0:1], v[40:41] op_sel_hi:[1,0,1]
	v_pk_fma_f32 v[28:29], v[28:29], s[0:1], v[40:41] op_sel_hi:[1,0,1] neg_lo:[0,0,1] neg_hi:[0,0,1]
	v_mov_b32_e32 v15, v43
	v_pk_mul_f32 v[38:39], v[38:39], s[10:11] op_sel:[1,0] op_sel_hi:[0,0]
	v_mov_b32_e32 v40, v30
	v_mov_b32_e32 v41, v29
	v_pk_add_f32 v[14:15], v[36:37], v[14:15]
	v_mov_b32_e32 v17, v45
	v_pk_add_f32 v[18:19], v[18:19], v[40:41]
	v_pk_fma_f32 v[40:41], v[26:27], s[6:7], v[38:39] op_sel_hi:[1,0,1]
	v_pk_fma_f32 v[26:27], v[26:27], s[6:7], v[38:39] op_sel_hi:[1,0,1] neg_lo:[0,0,1] neg_hi:[0,0,1]
	v_pk_add_f32 v[14:15], v[14:15], v[16:17]
	v_mov_b32_e32 v23, v21
	v_pk_mul_f32 v[32:33], v[32:33], s[18:19] op_sel:[1,0] op_sel_hi:[0,0]
	v_mov_b32_e32 v38, v40
	v_mov_b32_e32 v39, v27
	v_pk_add_f32 v[14:15], v[14:15], v[22:23]
	v_mov_b32_e32 v29, v31
	v_pk_add_f32 v[18:19], v[18:19], v[38:39]
	v_pk_fma_f32 v[38:39], v[24:25], s[2:3], v[32:33] op_sel_hi:[1,0,1]
	v_pk_fma_f32 v[24:25], v[24:25], s[2:3], v[32:33] op_sel_hi:[1,0,1] neg_lo:[0,0,1] neg_hi:[0,0,1]
	v_pk_add_f32 v[14:15], v[14:15], v[28:29]
	v_mov_b32_e32 v27, v41
	v_mov_b32_e32 v33, v25
	v_pk_add_f32 v[14:15], v[14:15], v[26:27]
	v_mov_b32_e32 v25, v39
	v_mov_b32_e32 v76, v74
	;; [unrolled: 1-line block ×3, first 2 shown]
	v_pk_add_f32 v[14:15], v[14:15], v[24:25]
	v_pk_add_f32 v[56:57], v[56:57], v[76:77]
	;; [unrolled: 1-line block ×3, first 2 shown]
	global_store_dwordx2 v[0:1], v[14:15], off
	global_store_dwordx2 v[2:3], v[18:19], off
	;; [unrolled: 1-line block ×7, first 2 shown]
	s_endpgm
	.section	.rodata,"a",@progbits
	.p2align	6, 0x0
	.amdhsa_kernel fft_rtc_fwd_len91_factors_7_13_wgs_247_tpt_13_sp_ip_CI_sbrr_dirReg
		.amdhsa_group_segment_fixed_size 0
		.amdhsa_private_segment_fixed_size 0
		.amdhsa_kernarg_size 88
		.amdhsa_user_sgpr_count 2
		.amdhsa_user_sgpr_dispatch_ptr 0
		.amdhsa_user_sgpr_queue_ptr 0
		.amdhsa_user_sgpr_kernarg_segment_ptr 1
		.amdhsa_user_sgpr_dispatch_id 0
		.amdhsa_user_sgpr_kernarg_preload_length 0
		.amdhsa_user_sgpr_kernarg_preload_offset 0
		.amdhsa_user_sgpr_private_segment_size 0
		.amdhsa_uses_dynamic_stack 0
		.amdhsa_enable_private_segment 0
		.amdhsa_system_sgpr_workgroup_id_x 1
		.amdhsa_system_sgpr_workgroup_id_y 0
		.amdhsa_system_sgpr_workgroup_id_z 0
		.amdhsa_system_sgpr_workgroup_info 0
		.amdhsa_system_vgpr_workitem_id 0
		.amdhsa_next_free_vgpr 94
		.amdhsa_next_free_sgpr 30
		.amdhsa_accum_offset 96
		.amdhsa_reserve_vcc 1
		.amdhsa_float_round_mode_32 0
		.amdhsa_float_round_mode_16_64 0
		.amdhsa_float_denorm_mode_32 3
		.amdhsa_float_denorm_mode_16_64 3
		.amdhsa_dx10_clamp 1
		.amdhsa_ieee_mode 1
		.amdhsa_fp16_overflow 0
		.amdhsa_tg_split 0
		.amdhsa_exception_fp_ieee_invalid_op 0
		.amdhsa_exception_fp_denorm_src 0
		.amdhsa_exception_fp_ieee_div_zero 0
		.amdhsa_exception_fp_ieee_overflow 0
		.amdhsa_exception_fp_ieee_underflow 0
		.amdhsa_exception_fp_ieee_inexact 0
		.amdhsa_exception_int_div_zero 0
	.end_amdhsa_kernel
	.text
.Lfunc_end0:
	.size	fft_rtc_fwd_len91_factors_7_13_wgs_247_tpt_13_sp_ip_CI_sbrr_dirReg, .Lfunc_end0-fft_rtc_fwd_len91_factors_7_13_wgs_247_tpt_13_sp_ip_CI_sbrr_dirReg
                                        ; -- End function
	.section	.AMDGPU.csdata,"",@progbits
; Kernel info:
; codeLenInByte = 5760
; NumSgprs: 36
; NumVgprs: 94
; NumAgprs: 0
; TotalNumVgprs: 94
; ScratchSize: 0
; MemoryBound: 0
; FloatMode: 240
; IeeeMode: 1
; LDSByteSize: 0 bytes/workgroup (compile time only)
; SGPRBlocks: 4
; VGPRBlocks: 11
; NumSGPRsForWavesPerEU: 36
; NumVGPRsForWavesPerEU: 94
; AccumOffset: 96
; Occupancy: 5
; WaveLimiterHint : 1
; COMPUTE_PGM_RSRC2:SCRATCH_EN: 0
; COMPUTE_PGM_RSRC2:USER_SGPR: 2
; COMPUTE_PGM_RSRC2:TRAP_HANDLER: 0
; COMPUTE_PGM_RSRC2:TGID_X_EN: 1
; COMPUTE_PGM_RSRC2:TGID_Y_EN: 0
; COMPUTE_PGM_RSRC2:TGID_Z_EN: 0
; COMPUTE_PGM_RSRC2:TIDIG_COMP_CNT: 0
; COMPUTE_PGM_RSRC3_GFX90A:ACCUM_OFFSET: 23
; COMPUTE_PGM_RSRC3_GFX90A:TG_SPLIT: 0
	.text
	.p2alignl 6, 3212836864
	.fill 256, 4, 3212836864
	.type	__hip_cuid_8ce8d45619fa4425,@object ; @__hip_cuid_8ce8d45619fa4425
	.section	.bss,"aw",@nobits
	.globl	__hip_cuid_8ce8d45619fa4425
__hip_cuid_8ce8d45619fa4425:
	.byte	0                               ; 0x0
	.size	__hip_cuid_8ce8d45619fa4425, 1

	.ident	"AMD clang version 19.0.0git (https://github.com/RadeonOpenCompute/llvm-project roc-6.4.0 25133 c7fe45cf4b819c5991fe208aaa96edf142730f1d)"
	.section	".note.GNU-stack","",@progbits
	.addrsig
	.addrsig_sym __hip_cuid_8ce8d45619fa4425
	.amdgpu_metadata
---
amdhsa.kernels:
  - .agpr_count:     0
    .args:
      - .actual_access:  read_only
        .address_space:  global
        .offset:         0
        .size:           8
        .value_kind:     global_buffer
      - .offset:         8
        .size:           8
        .value_kind:     by_value
      - .actual_access:  read_only
        .address_space:  global
        .offset:         16
        .size:           8
        .value_kind:     global_buffer
      - .actual_access:  read_only
        .address_space:  global
        .offset:         24
        .size:           8
        .value_kind:     global_buffer
      - .offset:         32
        .size:           8
        .value_kind:     by_value
      - .actual_access:  read_only
        .address_space:  global
        .offset:         40
        .size:           8
        .value_kind:     global_buffer
      - .actual_access:  read_only
        .address_space:  global
        .offset:         48
        .size:           8
        .value_kind:     global_buffer
      - .offset:         56
        .size:           4
        .value_kind:     by_value
      - .actual_access:  read_only
        .address_space:  global
        .offset:         64
        .size:           8
        .value_kind:     global_buffer
      - .actual_access:  read_only
        .address_space:  global
        .offset:         72
        .size:           8
        .value_kind:     global_buffer
      - .address_space:  global
        .offset:         80
        .size:           8
        .value_kind:     global_buffer
    .group_segment_fixed_size: 0
    .kernarg_segment_align: 8
    .kernarg_segment_size: 88
    .language:       OpenCL C
    .language_version:
      - 2
      - 0
    .max_flat_workgroup_size: 247
    .name:           fft_rtc_fwd_len91_factors_7_13_wgs_247_tpt_13_sp_ip_CI_sbrr_dirReg
    .private_segment_fixed_size: 0
    .sgpr_count:     36
    .sgpr_spill_count: 0
    .symbol:         fft_rtc_fwd_len91_factors_7_13_wgs_247_tpt_13_sp_ip_CI_sbrr_dirReg.kd
    .uniform_work_group_size: 1
    .uses_dynamic_stack: false
    .vgpr_count:     94
    .vgpr_spill_count: 0
    .wavefront_size: 64
amdhsa.target:   amdgcn-amd-amdhsa--gfx950
amdhsa.version:
  - 1
  - 2
...

	.end_amdgpu_metadata
